;; amdgpu-corpus repo=FlagOpen/FlagGems kind=triton arch=gfx950 opt=O3 lang=triton
	.amdgcn_target "amdgcn-amd-amdhsa--gfx950"
	.amdhsa_code_object_version 5
	.text
	.globl	nll_loss_backward_kernel        ; -- Begin function nll_loss_backward_kernel
	.p2align	8
	.type	nll_loss_backward_kernel,@function
nll_loss_backward_kernel:               ; @nll_loss_backward_kernel
.Lfunc_begin0:
	.cfi_sections .debug_frame
	.cfi_startproc
; %bb.25:
	.file	1 "/root/src/amdgpu-assembly/repos/FlagOpen__FlagGems/triton_aot_kernels" "nllloss_aot.py"
	.loc	1 8 0 prologue_end              ; nllloss_aot.py:8:0
	s_load_dwordx2 s[2:3], s[0:1], 0x0
	s_load_dwordx8 s[4:11], s[0:1], 0x8
	s_load_dwordx4 s[12:15], s[0:1], 0x28
	s_waitcnt lgkmcnt(0)
	s_branch .LBB0_0
	.loc	1 0 0 is_stmt 0                 ; :0:0
.Ltmp0:
	.p2align	8
; %bb.26:
.LBB0_0:
.Ltmp1:
	.loc	1 21 47 is_stmt 1               ; nllloss_aot.py:21:47
	v_readfirstlane_b32 s0, v0
	.loc	1 45 28                         ; nllloss_aot.py:45:28
	s_and_b32 s0, s0, 0xc0
	.loc	1 25 18                         ; nllloss_aot.py:25:18
	v_mov_b64_e32 v[2:3], 0
	.loc	1 21 47                         ; nllloss_aot.py:21:47
	v_and_or_b32 v0, v0, 63, s0
	.loc	1 21 34 is_stmt 0               ; nllloss_aot.py:21:34
	v_lshl_or_b32 v6, s16, 10, v0
	.loc	1 25 28 is_stmt 1               ; nllloss_aot.py:25:28
	v_ashrrev_i32_e32 v7, 31, v6
	.loc	1 23 25                         ; nllloss_aot.py:23:25
	v_cmp_gt_i32_e64 s[18:19], s14, v6
	.loc	1 25 28                         ; nllloss_aot.py:25:28
	v_lshl_add_u64 v[10:11], v[6:7], 3, s[4:5]
	v_mov_b64_e32 v[8:9], v[2:3]
	.loc	1 25 18 is_stmt 0               ; nllloss_aot.py:25:18
	s_and_saveexec_b64 s[0:1], s[18:19]
	s_cbranch_execz .LBB0_2
; %bb.1:
	global_load_dwordx2 v[8:9], v[10:11], off
.LBB0_2:
	.loc	1 0 18                          ; nllloss_aot.py:0:18
	s_or_b64 exec, exec, s[0:1]
	.loc	1 21 34 is_stmt 1               ; nllloss_aot.py:21:34
	v_or_b32_e32 v13, 0x100, v6
	.loc	1 23 25                         ; nllloss_aot.py:23:25
	v_cmp_gt_i32_e64 s[4:5], s14, v13
	.loc	1 25 18                         ; nllloss_aot.py:25:18
	s_and_saveexec_b64 s[0:1], s[4:5]
	s_cbranch_execz .LBB0_4
; %bb.3:
	global_load_dwordx2 v[2:3], v[10:11], off offset:2048
.LBB0_4:
	.loc	1 0 18 is_stmt 0                ; nllloss_aot.py:0:18
	s_or_b64 exec, exec, s[0:1]
	.loc	1 21 34 is_stmt 1               ; nllloss_aot.py:21:34
	v_or_b32_e32 v12, 0x200, v6
	.loc	1 25 18                         ; nllloss_aot.py:25:18
	v_mov_b64_e32 v[0:1], 0
	.loc	1 23 25                         ; nllloss_aot.py:23:25
	v_cmp_gt_i32_e64 s[26:27], s14, v12
	v_mov_b64_e32 v[4:5], v[0:1]
	.loc	1 25 18                         ; nllloss_aot.py:25:18
	s_and_saveexec_b64 s[0:1], s[26:27]
	s_cbranch_execz .LBB0_6
; %bb.5:
	v_add_co_u32_e32 v4, vcc, 0x1000, v10
	s_nop 1
	v_addc_co_u32_e32 v5, vcc, 0, v11, vcc
	global_load_dwordx2 v[4:5], v[4:5], off
.LBB0_6:
	.loc	1 0 18 is_stmt 0                ; nllloss_aot.py:0:18
	s_or_b64 exec, exec, s[0:1]
	.loc	1 21 34 is_stmt 1               ; nllloss_aot.py:21:34
	v_or_b32_e32 v7, 0x300, v6
	.loc	1 23 25                         ; nllloss_aot.py:23:25
	v_cmp_gt_i32_e64 s[0:1], s14, v7
	.loc	1 25 18                         ; nllloss_aot.py:25:18
	s_and_saveexec_b64 s[16:17], s[0:1]
	s_cbranch_execz .LBB0_8
; %bb.7:
	v_add_co_u32_e32 v0, vcc, 0x1000, v10
	s_nop 1
	v_addc_co_u32_e32 v1, vcc, 0, v11, vcc
	global_load_dwordx2 v[0:1], v[0:1], off offset:2048
.LBB0_8:
	.loc	1 0 18 is_stmt 0                ; nllloss_aot.py:0:18
	s_or_b64 exec, exec, s[16:17]
	.loc	1 26 30 is_stmt 1               ; nllloss_aot.py:26:30
	s_ashr_i32 s11, s10, 31
	s_waitcnt vmcnt(0)
	v_cmp_ne_u64_e64 s[24:25], s[10:11], v[8:9]
	.loc	1 31 26                         ; nllloss_aot.py:31:26
	v_mov_b32_e32 v11, 0
	.loc	1 26 48                         ; nllloss_aot.py:26:48
	s_and_b64 s[20:21], s[18:19], s[24:25]
	v_mov_b32_e32 v15, v11
	.loc	1 31 26                         ; nllloss_aot.py:31:26
	s_and_saveexec_b64 s[16:17], s[20:21]
	s_cbranch_execz .LBB0_10
; %bb.9:
	.loc	1 0 26 is_stmt 0                ; nllloss_aot.py:0:26
	v_lshl_add_u64 v[14:15], v[8:9], 2, s[6:7]
	.loc	1 31 26                         ; nllloss_aot.py:31:26
	global_load_dword v15, v[14:15], off
.LBB0_10:
	.loc	1 0 26                          ; nllloss_aot.py:0:26
	s_or_b64 exec, exec, s[16:17]
	.loc	1 26 30 is_stmt 1               ; nllloss_aot.py:26:30
	v_cmp_ne_u64_e32 vcc, s[10:11], v[2:3]
	.loc	1 26 48 is_stmt 0               ; nllloss_aot.py:26:48
	s_and_b64 s[22:23], s[4:5], vcc
	.loc	1 31 26 is_stmt 1               ; nllloss_aot.py:31:26
	s_and_saveexec_b64 s[16:17], s[22:23]
	s_cbranch_execz .LBB0_12
; %bb.11:
	.loc	1 31 36 is_stmt 0               ; nllloss_aot.py:31:36
	v_lshl_add_u64 v[10:11], v[2:3], 2, s[6:7]
	.loc	1 31 26                         ; nllloss_aot.py:31:26
	global_load_dword v11, v[10:11], off
.LBB0_12:
	.loc	1 0 26                          ; nllloss_aot.py:0:26
	s_or_b64 exec, exec, s[16:17]
	.loc	1 26 30 is_stmt 1               ; nllloss_aot.py:26:30
	v_cmp_ne_u64_e32 vcc, s[10:11], v[4:5]
	.loc	1 31 26                         ; nllloss_aot.py:31:26
	v_mov_b32_e32 v10, 0
	.loc	1 26 48                         ; nllloss_aot.py:26:48
	s_and_b64 s[20:21], s[26:27], vcc
	v_mov_b32_e32 v14, v10
	.loc	1 31 26                         ; nllloss_aot.py:31:26
	s_and_saveexec_b64 s[16:17], s[20:21]
	s_cbranch_execz .LBB0_14
; %bb.13:
	.loc	1 31 36 is_stmt 0               ; nllloss_aot.py:31:36
	v_lshl_add_u64 v[16:17], v[4:5], 2, s[6:7]
	.loc	1 31 26                         ; nllloss_aot.py:31:26
	global_load_dword v14, v[16:17], off
.LBB0_14:
	.loc	1 0 26                          ; nllloss_aot.py:0:26
	s_or_b64 exec, exec, s[16:17]
	.loc	1 26 30 is_stmt 1               ; nllloss_aot.py:26:30
	v_cmp_ne_u64_e32 vcc, s[10:11], v[0:1]
	.loc	1 26 48 is_stmt 0               ; nllloss_aot.py:26:48
	s_and_b64 s[16:17], s[0:1], vcc
	.loc	1 31 26 is_stmt 1               ; nllloss_aot.py:31:26
	s_and_saveexec_b64 s[10:11], s[16:17]
	s_cbranch_execz .LBB0_16
; %bb.15:
	.loc	1 31 36 is_stmt 0               ; nllloss_aot.py:31:36
	v_lshl_add_u64 v[16:17], v[0:1], 2, s[6:7]
	.loc	1 31 26                         ; nllloss_aot.py:31:26
	global_load_dword v10, v[16:17], off
.LBB0_16:
	.loc	1 0 26                          ; nllloss_aot.py:0:26
	s_or_b64 exec, exec, s[10:11]
	.loc	1 37 27 is_stmt 1               ; nllloss_aot.py:37:27
	s_load_dword s7, s[2:3], 0x0
	.loc	1 39 26                         ; nllloss_aot.py:39:26
	s_load_dword s6, s[12:13], 0x0
	.loc	1 45 28                         ; nllloss_aot.py:45:28
	s_and_saveexec_b64 s[2:3], s[18:19]
	s_cbranch_execnz .LBB0_21
; %bb.17:
	.loc	1 0 28 is_stmt 0                ; nllloss_aot.py:0:28
	s_or_b64 exec, exec, s[2:3]
	.loc	1 43 42 is_stmt 1               ; nllloss_aot.py:43:42
	s_waitcnt lgkmcnt(0)
	s_xor_b32 s7, s7, 0x80000000
	.loc	1 45 28                         ; nllloss_aot.py:45:28
	s_and_saveexec_b64 s[2:3], s[4:5]
	s_cbranch_execnz .LBB0_22
.LBB0_18:
	.loc	1 0 28 is_stmt 0                ; nllloss_aot.py:0:28
	s_or_b64 exec, exec, s[2:3]
	.loc	1 45 28                         ; nllloss_aot.py:45:28
	s_and_saveexec_b64 s[2:3], s[26:27]
	s_cbranch_execnz .LBB0_23
.LBB0_19:
	.loc	1 0 28                          ; nllloss_aot.py:0:28
	s_or_b64 exec, exec, s[2:3]
	.loc	1 45 28                         ; nllloss_aot.py:45:28
	s_and_saveexec_b64 s[2:3], s[0:1]
	s_cbranch_execnz .LBB0_24
.LBB0_20:
	.loc	1 45 4                          ; nllloss_aot.py:45:4
	s_endpgm
.LBB0_21:
	.loc	1 43 53 is_stmt 1               ; nllloss_aot.py:43:53
	s_waitcnt vmcnt(0) lgkmcnt(0)
	v_mul_f32_e64 v15, v15, -s7
	.loc	1 43 63 is_stmt 0               ; nllloss_aot.py:43:63
	v_div_scale_f32 v16, s[10:11], s6, s6, v15
	v_rcp_f32_e32 v17, v16
	v_div_scale_f32 v18, vcc, v15, s6, v15
	v_fma_f32 v19, -v16, v17, 1.0
	v_fmac_f32_e32 v17, v19, v17
	v_mul_f32_e32 v19, v18, v17
	v_fma_f32 v20, -v16, v19, v18
	v_fmac_f32_e32 v19, v20, v17
	v_fma_f32 v16, -v16, v19, v18
	v_div_fmas_f32 v16, v16, v17, v19
	v_div_fixup_f32 v15, v16, s6, v15
	.loc	1 44 47 is_stmt 1               ; nllloss_aot.py:44:47
	v_mul_lo_u32 v16, v6, s15
	.loc	1 44 35 is_stmt 0               ; nllloss_aot.py:44:35
	v_ashrrev_i32_e32 v17, 31, v16
	v_lshl_add_u64 v[16:17], v[16:17], 2, s[8:9]
	.loc	1 43 72 is_stmt 1               ; nllloss_aot.py:43:72
	v_cndmask_b32_e64 v15, 0, v15, s[24:25]
	.loc	1 44 51                         ; nllloss_aot.py:44:51
	v_lshl_add_u64 v[8:9], v[8:9], 2, v[16:17]
	.loc	1 45 28                         ; nllloss_aot.py:45:28
	global_store_dword v[8:9], v15, off
	s_or_b64 exec, exec, s[2:3]
	.loc	1 43 42                         ; nllloss_aot.py:43:42
	s_xor_b32 s7, s7, 0x80000000
	.loc	1 45 28                         ; nllloss_aot.py:45:28
	s_and_saveexec_b64 s[2:3], s[4:5]
	s_cbranch_execz .LBB0_18
.LBB0_22:
	.loc	1 43 53                         ; nllloss_aot.py:43:53
	s_waitcnt vmcnt(0)
	v_mul_f32_e32 v6, s7, v11
	.loc	1 43 63 is_stmt 0               ; nllloss_aot.py:43:63
	v_div_scale_f32 v8, s[4:5], s6, s6, v6
	v_rcp_f32_e32 v9, v8
	v_div_scale_f32 v11, vcc, v6, s6, v6
	v_fma_f32 v15, -v8, v9, 1.0
	v_fmac_f32_e32 v9, v15, v9
	v_mul_f32_e32 v15, v11, v9
	v_fma_f32 v16, -v8, v15, v11
	v_fmac_f32_e32 v15, v16, v9
	v_fma_f32 v8, -v8, v15, v11
	v_div_fmas_f32 v8, v8, v9, v15
	v_div_fixup_f32 v6, v8, s6, v6
	.loc	1 44 47 is_stmt 1               ; nllloss_aot.py:44:47
	v_mul_lo_u32 v8, v13, s15
	.loc	1 44 35 is_stmt 0               ; nllloss_aot.py:44:35
	v_ashrrev_i32_e32 v9, 31, v8
	v_lshl_add_u64 v[8:9], v[8:9], 2, s[8:9]
	.loc	1 43 72 is_stmt 1               ; nllloss_aot.py:43:72
	v_cndmask_b32_e64 v6, 0, v6, s[22:23]
	.loc	1 44 51                         ; nllloss_aot.py:44:51
	v_lshl_add_u64 v[2:3], v[2:3], 2, v[8:9]
	.loc	1 45 28                         ; nllloss_aot.py:45:28
	global_store_dword v[2:3], v6, off
	s_or_b64 exec, exec, s[2:3]
	s_and_saveexec_b64 s[2:3], s[26:27]
	s_cbranch_execz .LBB0_19
.LBB0_23:
	.loc	1 43 53                         ; nllloss_aot.py:43:53
	s_waitcnt vmcnt(0)
	v_mul_f32_e32 v2, s7, v14
	.loc	1 43 63 is_stmt 0               ; nllloss_aot.py:43:63
	v_div_scale_f32 v3, s[4:5], s6, s6, v2
	v_rcp_f32_e32 v6, v3
	v_div_scale_f32 v8, vcc, v2, s6, v2
	v_fma_f32 v9, -v3, v6, 1.0
	v_fmac_f32_e32 v6, v9, v6
	v_mul_f32_e32 v9, v8, v6
	v_fma_f32 v11, -v3, v9, v8
	v_fmac_f32_e32 v9, v11, v6
	v_fma_f32 v3, -v3, v9, v8
	v_div_fmas_f32 v3, v3, v6, v9
	v_div_fixup_f32 v2, v3, s6, v2
	.loc	1 43 72                         ; nllloss_aot.py:43:72
	v_cndmask_b32_e64 v6, 0, v2, s[20:21]
	.loc	1 44 47 is_stmt 1               ; nllloss_aot.py:44:47
	v_mul_lo_u32 v2, v12, s15
	.loc	1 44 35 is_stmt 0               ; nllloss_aot.py:44:35
	v_ashrrev_i32_e32 v3, 31, v2
	v_lshl_add_u64 v[2:3], v[2:3], 2, s[8:9]
	.loc	1 44 51                         ; nllloss_aot.py:44:51
	v_lshl_add_u64 v[2:3], v[4:5], 2, v[2:3]
	.loc	1 45 28 is_stmt 1               ; nllloss_aot.py:45:28
	global_store_dword v[2:3], v6, off
	s_or_b64 exec, exec, s[2:3]
	s_and_saveexec_b64 s[2:3], s[0:1]
	s_cbranch_execz .LBB0_20
.LBB0_24:
	.loc	1 43 53                         ; nllloss_aot.py:43:53
	s_waitcnt vmcnt(0)
	v_mul_f32_e32 v2, s7, v10
	.loc	1 43 63 is_stmt 0               ; nllloss_aot.py:43:63
	v_div_scale_f32 v3, s[0:1], s6, s6, v2
	v_rcp_f32_e32 v4, v3
	v_div_scale_f32 v5, vcc, v2, s6, v2
	v_fma_f32 v6, -v3, v4, 1.0
	v_fmac_f32_e32 v4, v6, v4
	v_mul_f32_e32 v6, v5, v4
	v_fma_f32 v8, -v3, v6, v5
	v_fmac_f32_e32 v6, v8, v4
	v_fma_f32 v3, -v3, v6, v5
	v_div_fmas_f32 v3, v3, v4, v6
	v_div_fixup_f32 v2, v3, s6, v2
	.loc	1 43 72                         ; nllloss_aot.py:43:72
	v_cndmask_b32_e64 v4, 0, v2, s[16:17]
	.loc	1 44 47 is_stmt 1               ; nllloss_aot.py:44:47
	v_mul_lo_u32 v2, v7, s15
	.loc	1 44 35 is_stmt 0               ; nllloss_aot.py:44:35
	v_ashrrev_i32_e32 v3, 31, v2
	v_lshl_add_u64 v[2:3], v[2:3], 2, s[8:9]
	.loc	1 44 51                         ; nllloss_aot.py:44:51
	v_lshl_add_u64 v[0:1], v[0:1], 2, v[2:3]
	.loc	1 45 28 is_stmt 1               ; nllloss_aot.py:45:28
	global_store_dword v[0:1], v4, off
	.loc	1 45 4 is_stmt 0                ; nllloss_aot.py:45:4
	s_endpgm
.Ltmp2:
	.section	.rodata,"a",@progbits
	.p2align	6, 0x0
	.amdhsa_kernel nll_loss_backward_kernel
		.amdhsa_group_segment_fixed_size 0
		.amdhsa_private_segment_fixed_size 0
		.amdhsa_kernarg_size 72
		.amdhsa_user_sgpr_count 16
		.amdhsa_user_sgpr_dispatch_ptr 0
		.amdhsa_user_sgpr_queue_ptr 0
		.amdhsa_user_sgpr_kernarg_segment_ptr 1
		.amdhsa_user_sgpr_dispatch_id 0
		.amdhsa_user_sgpr_kernarg_preload_length 14
		.amdhsa_user_sgpr_kernarg_preload_offset 0
		.amdhsa_user_sgpr_private_segment_size 0
		.amdhsa_uses_dynamic_stack 0
		.amdhsa_enable_private_segment 0
		.amdhsa_system_sgpr_workgroup_id_x 1
		.amdhsa_system_sgpr_workgroup_id_y 0
		.amdhsa_system_sgpr_workgroup_id_z 0
		.amdhsa_system_sgpr_workgroup_info 0
		.amdhsa_system_vgpr_workitem_id 0
		.amdhsa_next_free_vgpr 21
		.amdhsa_next_free_sgpr 28
		.amdhsa_accum_offset 24
		.amdhsa_reserve_vcc 1
		.amdhsa_reserve_xnack_mask 1
		.amdhsa_float_round_mode_32 0
		.amdhsa_float_round_mode_16_64 0
		.amdhsa_float_denorm_mode_32 3
		.amdhsa_float_denorm_mode_16_64 3
		.amdhsa_dx10_clamp 1
		.amdhsa_ieee_mode 1
		.amdhsa_fp16_overflow 0
		.amdhsa_tg_split 0
		.amdhsa_exception_fp_ieee_invalid_op 0
		.amdhsa_exception_fp_denorm_src 0
		.amdhsa_exception_fp_ieee_div_zero 0
		.amdhsa_exception_fp_ieee_overflow 0
		.amdhsa_exception_fp_ieee_underflow 0
		.amdhsa_exception_fp_ieee_inexact 0
		.amdhsa_exception_int_div_zero 0
	.end_amdhsa_kernel
	.text
.Lfunc_end0:
	.size	nll_loss_backward_kernel, .Lfunc_end0-nll_loss_backward_kernel
	.cfi_endproc
                                        ; -- End function
	.set nll_loss_backward_kernel.num_vgpr, 21
	.set nll_loss_backward_kernel.num_agpr, 0
	.set nll_loss_backward_kernel.numbered_sgpr, 28
	.set nll_loss_backward_kernel.num_named_barrier, 0
	.set nll_loss_backward_kernel.private_seg_size, 0
	.set nll_loss_backward_kernel.uses_vcc, 1
	.set nll_loss_backward_kernel.uses_flat_scratch, 0
	.set nll_loss_backward_kernel.has_dyn_sized_stack, 0
	.set nll_loss_backward_kernel.has_recursion, 0
	.set nll_loss_backward_kernel.has_indirect_call, 0
	.section	.AMDGPU.csdata,"",@progbits
; Kernel info:
; codeLenInByte = 1276
; TotalNumSgprs: 34
; NumVgprs: 21
; NumAgprs: 0
; TotalNumVgprs: 21
; ScratchSize: 0
; MemoryBound: 0
; FloatMode: 240
; IeeeMode: 1
; LDSByteSize: 0 bytes/workgroup (compile time only)
; SGPRBlocks: 4
; VGPRBlocks: 2
; NumSGPRsForWavesPerEU: 34
; NumVGPRsForWavesPerEU: 21
; AccumOffset: 24
; Occupancy: 8
; WaveLimiterHint : 0
; COMPUTE_PGM_RSRC2:SCRATCH_EN: 0
; COMPUTE_PGM_RSRC2:USER_SGPR: 16
; COMPUTE_PGM_RSRC2:TRAP_HANDLER: 0
; COMPUTE_PGM_RSRC2:TGID_X_EN: 1
; COMPUTE_PGM_RSRC2:TGID_Y_EN: 0
; COMPUTE_PGM_RSRC2:TGID_Z_EN: 0
; COMPUTE_PGM_RSRC2:TIDIG_COMP_CNT: 0
; COMPUTE_PGM_RSRC3_GFX90A:ACCUM_OFFSET: 5
; COMPUTE_PGM_RSRC3_GFX90A:TG_SPLIT: 0
	.text
	.p2alignl 6, 3212836864
	.fill 256, 4, 3212836864
	.section	.AMDGPU.gpr_maximums,"",@progbits
	.set amdgpu.max_num_vgpr, 0
	.set amdgpu.max_num_agpr, 0
	.set amdgpu.max_num_sgpr, 0
	.set amdgpu.max_num_named_barrier, 0
	.text
	.section	.debug_abbrev,"",@progbits
	.byte	1                               ; Abbreviation Code
	.byte	17                              ; DW_TAG_compile_unit
	.byte	0                               ; DW_CHILDREN_no
	.byte	37                              ; DW_AT_producer
	.byte	14                              ; DW_FORM_strp
	.byte	19                              ; DW_AT_language
	.byte	5                               ; DW_FORM_data2
	.byte	3                               ; DW_AT_name
	.byte	14                              ; DW_FORM_strp
	.byte	16                              ; DW_AT_stmt_list
	.byte	23                              ; DW_FORM_sec_offset
	.byte	27                              ; DW_AT_comp_dir
	.byte	14                              ; DW_FORM_strp
	.byte	17                              ; DW_AT_low_pc
	.byte	1                               ; DW_FORM_addr
	.byte	18                              ; DW_AT_high_pc
	.byte	6                               ; DW_FORM_data4
	.byte	0                               ; EOM(1)
	.byte	0                               ; EOM(2)
	;; [unrolled: 1-line block ×3, first 2 shown]
	.section	.debug_info,"",@progbits
.Lcu_begin0:
	.long	.Ldebug_info_end0-.Ldebug_info_start0 ; Length of Unit
.Ldebug_info_start0:
	.short	4                               ; DWARF version number
	.long	.debug_abbrev                   ; Offset Into Abbrev. Section
	.byte	8                               ; Address Size (in bytes)
	.byte	1                               ; Abbrev [1] 0xb:0x1f DW_TAG_compile_unit
	.long	.Linfo_string0                  ; DW_AT_producer
	.short	2                               ; DW_AT_language
	.long	.Linfo_string1                  ; DW_AT_name
	.long	.Lline_table_start0             ; DW_AT_stmt_list
	.long	.Linfo_string2                  ; DW_AT_comp_dir
	.quad	.Lfunc_begin0                   ; DW_AT_low_pc
	.long	.Lfunc_end0-.Lfunc_begin0       ; DW_AT_high_pc
.Ldebug_info_end0:
	.section	.debug_str,"MS",@progbits,1
.Linfo_string0:
	.asciz	"triton"                        ; string offset=0
.Linfo_string1:
	.asciz	"nllloss_aot.py"                ; string offset=7
.Linfo_string2:
	.asciz	"/root/src/amdgpu-assembly/repos/FlagOpen__FlagGems/triton_aot_kernels" ; string offset=22
	.section	".note.GNU-stack","",@progbits
	.amdgpu_metadata
---
amdhsa.kernels:
  - .agpr_count:     0
    .args:
      - .address_space:  global
        .offset:         0
        .size:           8
        .value_kind:     global_buffer
      - .address_space:  global
        .offset:         8
        .size:           8
        .value_kind:     global_buffer
      - .address_space:  global
        .offset:         16
        .size:           8
        .value_kind:     global_buffer
      - .address_space:  global
        .offset:         24
        .size:           8
        .value_kind:     global_buffer
      - .offset:         32
        .size:           4
        .value_kind:     by_value
      - .address_space:  global
        .offset:         40
        .size:           8
        .value_kind:     global_buffer
      - .offset:         48
        .size:           4
        .value_kind:     by_value
      - .offset:         52
        .size:           4
        .value_kind:     by_value
      - .address_space:  global
        .offset:         56
        .size:           8
        .value_kind:     global_buffer
      - .address_space:  global
        .offset:         64
        .size:           8
        .value_kind:     global_buffer
    .group_segment_fixed_size: 0
    .kernarg_segment_align: 8
    .kernarg_segment_size: 72
    .max_flat_workgroup_size: 256
    .name:           nll_loss_backward_kernel
    .private_segment_fixed_size: 0
    .sgpr_count:     34
    .sgpr_spill_count: 0
    .symbol:         nll_loss_backward_kernel.kd
    .uniform_work_group_size: 1
    .uses_dynamic_stack: false
    .vgpr_count:     21
    .vgpr_spill_count: 0
    .wavefront_size: 64
amdhsa.target:   amdgcn-amd-amdhsa--gfx950
amdhsa.version:
  - 1
  - 2
...

	.end_amdgpu_metadata
	.section	.debug_line,"",@progbits
.Lline_table_start0:
